;; amdgpu-corpus repo=ROCm/rocFFT kind=compiled arch=gfx906 opt=O3
	.text
	.amdgcn_target "amdgcn-amd-amdhsa--gfx906"
	.amdhsa_code_object_version 6
	.protected	fft_rtc_back_len17_factors_17_wgs_120_tpt_1_half_op_CI_CI_unitstride_sbrr_dirReg ; -- Begin function fft_rtc_back_len17_factors_17_wgs_120_tpt_1_half_op_CI_CI_unitstride_sbrr_dirReg
	.globl	fft_rtc_back_len17_factors_17_wgs_120_tpt_1_half_op_CI_CI_unitstride_sbrr_dirReg
	.p2align	8
	.type	fft_rtc_back_len17_factors_17_wgs_120_tpt_1_half_op_CI_CI_unitstride_sbrr_dirReg,@function
fft_rtc_back_len17_factors_17_wgs_120_tpt_1_half_op_CI_CI_unitstride_sbrr_dirReg: ; @fft_rtc_back_len17_factors_17_wgs_120_tpt_1_half_op_CI_CI_unitstride_sbrr_dirReg
; %bb.0:
	s_load_dwordx4 s[8:11], s[4:5], 0x58
	s_load_dwordx2 s[2:3], s[4:5], 0x8
	s_load_dwordx4 s[12:15], s[4:5], 0x18
	s_mulk_i32 s6, 0x78
	v_add_u32_e32 v4, s6, v0
	v_mov_b32_e32 v2, 0
	s_waitcnt lgkmcnt(0)
	v_cmp_lt_u64_e64 s[0:1], s[2:3], 2
	v_mov_b32_e32 v0, 0
	v_mov_b32_e32 v5, v2
	s_and_b64 vcc, exec, s[0:1]
	v_mov_b32_e32 v1, 0
	s_cbranch_vccnz .LBB0_8
; %bb.1:
	s_load_dwordx2 s[0:1], s[4:5], 0x10
	s_add_u32 s6, s14, 8
	s_addc_u32 s7, s15, 0
	s_add_u32 s16, s12, 8
	v_mov_b32_e32 v0, 0
	s_addc_u32 s17, s13, 0
	v_mov_b32_e32 v1, 0
	s_waitcnt lgkmcnt(0)
	s_add_u32 s18, s0, 8
	v_mov_b32_e32 v17, v1
	s_addc_u32 s19, s1, 0
	s_mov_b64 s[20:21], 1
	v_mov_b32_e32 v16, v0
.LBB0_2:                                ; =>This Inner Loop Header: Depth=1
	s_load_dwordx2 s[22:23], s[18:19], 0x0
                                        ; implicit-def: $vgpr18_vgpr19
	s_waitcnt lgkmcnt(0)
	v_or_b32_e32 v3, s23, v5
	v_cmp_ne_u64_e32 vcc, 0, v[2:3]
	s_and_saveexec_b64 s[0:1], vcc
	s_xor_b64 s[24:25], exec, s[0:1]
	s_cbranch_execz .LBB0_4
; %bb.3:                                ;   in Loop: Header=BB0_2 Depth=1
	v_cvt_f32_u32_e32 v3, s22
	v_cvt_f32_u32_e32 v6, s23
	s_sub_u32 s0, 0, s22
	s_subb_u32 s1, 0, s23
	v_mac_f32_e32 v3, 0x4f800000, v6
	v_rcp_f32_e32 v3, v3
	v_mul_f32_e32 v3, 0x5f7ffffc, v3
	v_mul_f32_e32 v6, 0x2f800000, v3
	v_trunc_f32_e32 v6, v6
	v_mac_f32_e32 v3, 0xcf800000, v6
	v_cvt_u32_f32_e32 v6, v6
	v_cvt_u32_f32_e32 v3, v3
	v_mul_lo_u32 v7, s0, v6
	v_mul_hi_u32 v8, s0, v3
	v_mul_lo_u32 v10, s1, v3
	v_mul_lo_u32 v9, s0, v3
	v_add_u32_e32 v7, v8, v7
	v_add_u32_e32 v7, v7, v10
	v_mul_hi_u32 v8, v3, v9
	v_mul_lo_u32 v10, v3, v7
	v_mul_hi_u32 v12, v3, v7
	v_mul_hi_u32 v11, v6, v9
	v_mul_lo_u32 v9, v6, v9
	v_mul_hi_u32 v13, v6, v7
	v_add_co_u32_e32 v8, vcc, v8, v10
	v_addc_co_u32_e32 v10, vcc, 0, v12, vcc
	v_mul_lo_u32 v7, v6, v7
	v_add_co_u32_e32 v8, vcc, v8, v9
	v_addc_co_u32_e32 v8, vcc, v10, v11, vcc
	v_addc_co_u32_e32 v9, vcc, 0, v13, vcc
	v_add_co_u32_e32 v7, vcc, v8, v7
	v_addc_co_u32_e32 v8, vcc, 0, v9, vcc
	v_add_co_u32_e32 v3, vcc, v3, v7
	v_addc_co_u32_e32 v6, vcc, v6, v8, vcc
	v_mul_lo_u32 v7, s0, v6
	v_mul_hi_u32 v8, s0, v3
	v_mul_lo_u32 v9, s1, v3
	v_mul_lo_u32 v10, s0, v3
	v_add_u32_e32 v7, v8, v7
	v_add_u32_e32 v7, v7, v9
	v_mul_lo_u32 v11, v3, v7
	v_mul_hi_u32 v12, v3, v10
	v_mul_hi_u32 v13, v3, v7
	v_mul_hi_u32 v9, v6, v10
	v_mul_lo_u32 v10, v6, v10
	v_mul_hi_u32 v8, v6, v7
	v_add_co_u32_e32 v11, vcc, v12, v11
	v_addc_co_u32_e32 v12, vcc, 0, v13, vcc
	v_mul_lo_u32 v7, v6, v7
	v_add_co_u32_e32 v10, vcc, v11, v10
	v_addc_co_u32_e32 v9, vcc, v12, v9, vcc
	v_addc_co_u32_e32 v8, vcc, 0, v8, vcc
	v_add_co_u32_e32 v7, vcc, v9, v7
	v_addc_co_u32_e32 v8, vcc, 0, v8, vcc
	v_add_co_u32_e32 v3, vcc, v3, v7
	v_addc_co_u32_e32 v8, vcc, v6, v8, vcc
	v_mad_u64_u32 v[6:7], s[0:1], v4, v8, 0
	v_mul_hi_u32 v9, v4, v3
	v_add_co_u32_e32 v10, vcc, v9, v6
	v_addc_co_u32_e32 v11, vcc, 0, v7, vcc
	v_mad_u64_u32 v[6:7], s[0:1], v5, v3, 0
	v_mad_u64_u32 v[8:9], s[0:1], v5, v8, 0
	v_add_co_u32_e32 v3, vcc, v10, v6
	v_addc_co_u32_e32 v3, vcc, v11, v7, vcc
	v_addc_co_u32_e32 v6, vcc, 0, v9, vcc
	v_add_co_u32_e32 v3, vcc, v3, v8
	v_addc_co_u32_e32 v8, vcc, 0, v6, vcc
	v_mul_lo_u32 v9, s23, v3
	v_mul_lo_u32 v10, s22, v8
	v_mad_u64_u32 v[6:7], s[0:1], s22, v3, 0
	v_add3_u32 v7, v7, v10, v9
	v_sub_u32_e32 v9, v5, v7
	v_mov_b32_e32 v10, s23
	v_sub_co_u32_e32 v6, vcc, v4, v6
	v_subb_co_u32_e64 v9, s[0:1], v9, v10, vcc
	v_subrev_co_u32_e64 v10, s[0:1], s22, v6
	v_subbrev_co_u32_e64 v9, s[0:1], 0, v9, s[0:1]
	v_cmp_le_u32_e64 s[0:1], s23, v9
	v_cndmask_b32_e64 v11, 0, -1, s[0:1]
	v_cmp_le_u32_e64 s[0:1], s22, v10
	v_cndmask_b32_e64 v10, 0, -1, s[0:1]
	v_cmp_eq_u32_e64 s[0:1], s23, v9
	v_cndmask_b32_e64 v9, v11, v10, s[0:1]
	v_add_co_u32_e64 v10, s[0:1], 2, v3
	v_addc_co_u32_e64 v11, s[0:1], 0, v8, s[0:1]
	v_add_co_u32_e64 v12, s[0:1], 1, v3
	v_addc_co_u32_e64 v13, s[0:1], 0, v8, s[0:1]
	v_subb_co_u32_e32 v7, vcc, v5, v7, vcc
	v_cmp_ne_u32_e64 s[0:1], 0, v9
	v_cmp_le_u32_e32 vcc, s23, v7
	v_cndmask_b32_e64 v9, v13, v11, s[0:1]
	v_cndmask_b32_e64 v11, 0, -1, vcc
	v_cmp_le_u32_e32 vcc, s22, v6
	v_cndmask_b32_e64 v6, 0, -1, vcc
	v_cmp_eq_u32_e32 vcc, s23, v7
	v_cndmask_b32_e32 v6, v11, v6, vcc
	v_cmp_ne_u32_e32 vcc, 0, v6
	v_cndmask_b32_e64 v6, v12, v10, s[0:1]
	v_cndmask_b32_e32 v19, v8, v9, vcc
	v_cndmask_b32_e32 v18, v3, v6, vcc
.LBB0_4:                                ;   in Loop: Header=BB0_2 Depth=1
	s_andn2_saveexec_b64 s[0:1], s[24:25]
	s_cbranch_execz .LBB0_6
; %bb.5:                                ;   in Loop: Header=BB0_2 Depth=1
	v_cvt_f32_u32_e32 v3, s22
	s_sub_i32 s24, 0, s22
	v_mov_b32_e32 v19, v2
	v_rcp_iflag_f32_e32 v3, v3
	v_mul_f32_e32 v3, 0x4f7ffffe, v3
	v_cvt_u32_f32_e32 v3, v3
	v_mul_lo_u32 v6, s24, v3
	v_mul_hi_u32 v6, v3, v6
	v_add_u32_e32 v3, v3, v6
	v_mul_hi_u32 v3, v4, v3
	v_mul_lo_u32 v6, v3, s22
	v_add_u32_e32 v7, 1, v3
	v_sub_u32_e32 v6, v4, v6
	v_subrev_u32_e32 v8, s22, v6
	v_cmp_le_u32_e32 vcc, s22, v6
	v_cndmask_b32_e32 v6, v6, v8, vcc
	v_cndmask_b32_e32 v3, v3, v7, vcc
	v_add_u32_e32 v7, 1, v3
	v_cmp_le_u32_e32 vcc, s22, v6
	v_cndmask_b32_e32 v18, v3, v7, vcc
.LBB0_6:                                ;   in Loop: Header=BB0_2 Depth=1
	s_or_b64 exec, exec, s[0:1]
	v_mul_lo_u32 v3, v19, s22
	v_mul_lo_u32 v8, v18, s23
	v_mad_u64_u32 v[6:7], s[0:1], v18, s22, 0
	s_load_dwordx2 s[0:1], s[16:17], 0x0
	s_load_dwordx2 s[22:23], s[6:7], 0x0
	v_add3_u32 v3, v7, v8, v3
	v_sub_co_u32_e32 v4, vcc, v4, v6
	v_subb_co_u32_e32 v3, vcc, v5, v3, vcc
	s_waitcnt lgkmcnt(0)
	v_mul_lo_u32 v5, s0, v3
	v_mul_lo_u32 v6, s1, v4
	v_mad_u64_u32 v[0:1], s[0:1], s0, v4, v[0:1]
	v_mul_lo_u32 v3, s22, v3
	v_mul_lo_u32 v7, s23, v4
	v_mad_u64_u32 v[16:17], s[0:1], s22, v4, v[16:17]
	s_add_u32 s20, s20, 1
	s_addc_u32 s21, s21, 0
	s_add_u32 s6, s6, 8
	v_add3_u32 v17, v7, v17, v3
	s_addc_u32 s7, s7, 0
	v_mov_b32_e32 v4, s3
	s_add_u32 s16, s16, 8
	v_mov_b32_e32 v3, s2
	s_addc_u32 s17, s17, 0
	v_cmp_ge_u64_e32 vcc, s[20:21], v[3:4]
	s_add_u32 s18, s18, 8
	v_add3_u32 v1, v6, v1, v5
	s_addc_u32 s19, s19, 0
	s_cbranch_vccnz .LBB0_9
; %bb.7:                                ;   in Loop: Header=BB0_2 Depth=1
	v_mov_b32_e32 v4, v18
	v_mov_b32_e32 v5, v19
	s_branch .LBB0_2
.LBB0_8:
	v_mov_b32_e32 v17, v1
	v_mov_b32_e32 v19, v5
	;; [unrolled: 1-line block ×4, first 2 shown]
.LBB0_9:
	s_load_dwordx2 s[4:5], s[4:5], 0x28
	s_lshl_b64 s[0:1], s[2:3], 3
	s_add_u32 s2, s14, s0
	s_addc_u32 s3, s15, s1
                                        ; implicit-def: $vgpr20
                                        ; implicit-def: $vgpr15
                                        ; implicit-def: $vgpr8
                                        ; implicit-def: $vgpr3
                                        ; implicit-def: $vgpr4
	s_waitcnt lgkmcnt(0)
	v_cmp_gt_u64_e32 vcc, s[4:5], v[18:19]
	s_and_saveexec_b64 s[4:5], vcc
	s_cbranch_execnz .LBB0_12
; %bb.10:
	s_or_b64 exec, exec, s[4:5]
	s_and_saveexec_b64 s[0:1], vcc
	s_cbranch_execnz .LBB0_13
.LBB0_11:
	s_endpgm
.LBB0_12:
	s_add_u32 s0, s12, s0
	s_addc_u32 s1, s13, s1
	s_load_dwordx2 s[0:1], s[0:1], 0x0
	v_mov_b32_e32 v6, s9
	v_lshlrev_b64 v[0:1], 2, v[0:1]
	s_waitcnt lgkmcnt(0)
	v_mul_lo_u32 v4, s1, v18
	v_mul_lo_u32 v5, s0, v19
	v_mad_u64_u32 v[2:3], s[0:1], s0, v18, 0
	v_add3_u32 v3, v3, v5, v4
	v_lshlrev_b64 v[2:3], 2, v[2:3]
	v_add_co_u32_e64 v2, s[0:1], s8, v2
	v_addc_co_u32_e64 v3, s[0:1], v6, v3, s[0:1]
	v_add_co_u32_e64 v21, s[0:1], v2, v0
	v_addc_co_u32_e64 v22, s[0:1], v3, v1, s[0:1]
	global_load_dword v20, v[21:22], off
	global_load_dwordx4 v[0:3], v[21:22], off offset:4
	global_load_dwordx4 v[12:15], v[21:22], off offset:20
	;; [unrolled: 1-line block ×4, first 2 shown]
	s_or_b64 exec, exec, s[4:5]
	s_and_saveexec_b64 s[0:1], vcc
	s_cbranch_execz .LBB0_11
.LBB0_13:
	s_waitcnt vmcnt(3)
	v_pk_add_f16 v27, v0, v20
	v_pk_add_f16 v27, v1, v27
	;; [unrolled: 1-line block ×4, first 2 shown]
	s_waitcnt vmcnt(1)
	v_pk_add_f16 v23, v12, v11
	v_pk_add_f16 v26, v12, v11 neg_lo:[0,1] neg_hi:[0,1]
	v_pk_add_f16 v12, v12, v27
	v_pk_add_f16 v12, v13, v12
	;; [unrolled: 1-line block ×3, first 2 shown]
	s_load_dwordx2 s[0:1], s[2:3], 0x0
	v_pk_add_f16 v22, v13, v10
	v_pk_add_f16 v25, v13, v10 neg_lo:[0,1] neg_hi:[0,1]
	v_pk_add_f16 v13, v15, v12
	v_pk_add_f16 v21, v14, v9
	v_pk_add_f16 v24, v14, v9 neg_lo:[0,1] neg_hi:[0,1]
	v_pk_add_f16 v12, v15, v8
	v_pk_add_f16 v14, v15, v8 neg_lo:[0,1] neg_hi:[0,1]
	s_waitcnt vmcnt(0)
	v_pk_add_f16 v15, v0, v7
	v_pk_add_f16 v27, v0, v7 neg_lo:[0,1] neg_hi:[0,1]
	v_pk_add_f16 v0, v8, v13
	v_pk_add_f16 v0, v9, v0
	v_pk_add_f16 v0, v10, v0
	v_pk_add_f16 v8, v11, v0
	v_pk_add_f16 v9, v1, v6
	v_pk_add_f16 v10, v1, v6 neg_lo:[0,1] neg_hi:[0,1]
	s_waitcnt lgkmcnt(0)
	v_mul_lo_u32 v13, s1, v18
	v_mul_lo_u32 v19, s0, v19
	v_mad_u64_u32 v[0:1], s[0:1], s0, v18, 0
	v_pk_add_f16 v11, v2, v5
	v_pk_add_f16 v18, v2, v5 neg_lo:[0,1] neg_hi:[0,1]
	v_add3_u32 v1, v1, v19, v13
	v_pk_add_f16 v2, v4, v8
	v_pk_add_f16 v2, v5, v2
	v_lshlrev_b64 v[0:1], 2, v[0:1]
	v_pk_add_f16 v2, v6, v2
	v_pk_add_f16 v28, v3, v4
	v_pk_add_f16 v29, v3, v4 neg_lo:[0,1] neg_hi:[0,1]
	v_pk_add_f16 v6, v7, v2
	v_mov_b32_e32 v2, s11
	v_add_co_u32_e32 v3, vcc, s10, v0
	v_addc_co_u32_e32 v2, vcc, v2, v1, vcc
	v_lshlrev_b64 v[0:1], 2, v[16:17]
	v_lshrrev_b32_e32 v13, 16, v15
	s_movk_i32 s0, 0x2de8
	v_mul_f16_e32 v8, 0xbbf7, v27
	v_lshrrev_b32_e32 v19, 16, v9
	s_mov_b32 s1, 0xbbdd
	v_fma_f16 v30, v13, s0, -v8
	v_add_co_u32_e32 v4, vcc, v3, v0
	v_mul_f16_e32 v16, 0xb1e1, v10
	v_lshrrev_b32_e32 v7, 16, v11
	s_mov_b32 s2, 0xb461
	v_addc_co_u32_e32 v5, vcc, v2, v1, vcc
	v_fma_f16 v0, v19, s1, -v16
	v_mul_f16_e32 v17, 0x3bb2, v18
	v_add_f16_sdwa v1, v30, v20 dst_sel:DWORD dst_unused:UNUSED_PAD src0_sel:DWORD src1_sel:WORD_1
	v_add_f16_e32 v0, v0, v1
	v_fma_f16 v1, v7, s2, -v17
	v_lshrrev_b32_e32 v30, 16, v28
	s_movk_i32 s3, 0x3b76
	v_mul_f16_e32 v31, 0x35c8, v29
	v_add_f16_e32 v0, v1, v0
	v_fma_f16 v1, v30, s3, -v31
	s_movk_i32 s4, 0x3722
	v_lshrrev_b32_e32 v32, 16, v23
	v_mul_f16_e32 v33, 0xbb29, v26
	v_add_f16_e32 v0, v1, v0
	v_fma_f16 v1, v32, s4, -v33
	s_mov_b32 s5, 0xbacd
	v_lshrrev_b32_e32 v34, 16, v22
	v_mul_f16_e32 v35, 0xb836, v25
	v_add_f16_e32 v0, v1, v0
	v_fma_f16 v1, v34, s5, -v35
	s_mov_b32 s6, 0xb8d2
	v_lshrrev_b32_e32 v36, 16, v21
	v_mul_f16_e32 v37, 0x3a62, v24
	v_add_f16_e32 v0, v1, v0
	v_fma_f16 v1, v36, s6, -v37
	s_movk_i32 s7, 0x39e9
	v_lshrrev_b32_e32 v38, 16, v12
	v_mul_f16_e32 v39, 0x3964, v14
	s_mov_b32 s15, 0xbbf7
	v_add_f16_e32 v0, v1, v0
	v_fma_f16 v1, v38, s7, -v39
	s_mov_b32 s8, 0xb1e1
	v_mul_f16_sdwa v40, v27, s15 dst_sel:DWORD dst_unused:UNUSED_PAD src0_sel:WORD_1 src1_sel:DWORD
	v_add_f16_e32 v0, v1, v0
	v_fma_f16 v1, v15, s0, v40
	v_mul_f16_sdwa v41, v10, s8 dst_sel:DWORD dst_unused:UNUSED_PAD src0_sel:WORD_1 src1_sel:DWORD
	s_movk_i32 s12, 0x3bb2
	v_add_f16_e32 v1, v1, v20
	v_fma_f16 v2, v9, s1, v41
	v_mul_f16_sdwa v42, v18, s12 dst_sel:DWORD dst_unused:UNUSED_PAD src0_sel:WORD_1 src1_sel:DWORD
	s_movk_i32 s17, 0x35c8
	v_add_f16_e32 v1, v2, v1
	v_fma_f16 v2, v11, s2, v42
	v_mul_f16_sdwa v43, v29, s17 dst_sel:DWORD dst_unused:UNUSED_PAD src0_sel:WORD_1 src1_sel:DWORD
	s_mov_b32 s9, 0xbb29
	v_add_f16_e32 v1, v2, v1
	v_fma_f16 v2, v28, s3, v43
	v_mul_f16_sdwa v44, v26, s9 dst_sel:DWORD dst_unused:UNUSED_PAD src0_sel:WORD_1 src1_sel:DWORD
	s_mov_b32 s13, 0xb836
	v_add_f16_e32 v1, v2, v1
	v_fma_f16 v2, v23, s4, v44
	v_mul_f16_sdwa v45, v25, s13 dst_sel:DWORD dst_unused:UNUSED_PAD src0_sel:WORD_1 src1_sel:DWORD
	s_movk_i32 s16, 0x3a62
	v_add_f16_e32 v1, v2, v1
	v_fma_f16 v2, v22, s5, v45
	v_mul_f16_sdwa v46, v24, s16 dst_sel:DWORD dst_unused:UNUSED_PAD src0_sel:WORD_1 src1_sel:DWORD
	s_movk_i32 s10, 0x3964
	v_add_f16_e32 v1, v2, v1
	v_fma_f16 v2, v21, s6, v46
	v_mul_f16_sdwa v47, v14, s10 dst_sel:DWORD dst_unused:UNUSED_PAD src0_sel:WORD_1 src1_sel:DWORD
	v_add_f16_e32 v1, v2, v1
	v_fma_f16 v2, v12, s7, v47
	v_mul_f16_e32 v48, 0xbb29, v27
	v_add_f16_e32 v1, v2, v1
	v_fma_f16 v2, v13, s4, -v48
	v_mul_f16_e32 v49, 0xba62, v10
	v_add_f16_sdwa v2, v2, v20 dst_sel:DWORD dst_unused:UNUSED_PAD src0_sel:DWORD src1_sel:WORD_1
	v_fma_f16 v3, v19, s6, -v49
	v_mul_f16_e32 v50, 0x31e1, v18
	v_add_f16_e32 v2, v3, v2
	v_fma_f16 v3, v7, s1, -v50
	v_mul_f16_e32 v51, 0x3bb2, v29
	v_add_f16_e32 v2, v3, v2
	;; [unrolled: 3-line block ×6, first 2 shown]
	v_fma_f16 v3, v38, s5, -v55
	s_mov_b32 s11, 0xba62
	v_mul_f16_sdwa v56, v27, s9 dst_sel:DWORD dst_unused:UNUSED_PAD src0_sel:WORD_1 src1_sel:DWORD
	v_add_f16_e32 v2, v3, v2
	v_fma_f16 v3, v15, s4, v56
	v_mul_f16_sdwa v57, v10, s11 dst_sel:DWORD dst_unused:UNUSED_PAD src0_sel:WORD_1 src1_sel:DWORD
	v_add_f16_e32 v3, v3, v20
	v_fma_f16 v58, v9, s6, v57
	s_movk_i32 s14, 0x31e1
	v_add_f16_e32 v3, v58, v3
	v_mul_f16_sdwa v58, v18, s14 dst_sel:DWORD dst_unused:UNUSED_PAD src0_sel:WORD_1 src1_sel:DWORD
	v_fma_f16 v59, v11, s1, v58
	v_add_f16_e32 v3, v59, v3
	v_mul_f16_sdwa v59, v29, s12 dst_sel:DWORD dst_unused:UNUSED_PAD src0_sel:WORD_1 src1_sel:DWORD
	v_fma_f16 v60, v28, s2, v59
	;; [unrolled: 3-line block ×3, first 2 shown]
	s_mov_b32 s14, 0xb5c8
	v_add_f16_e32 v3, v61, v3
	v_mul_f16_sdwa v61, v25, s14 dst_sel:DWORD dst_unused:UNUSED_PAD src0_sel:WORD_1 src1_sel:DWORD
	v_fma_f16 v62, v22, s3, v61
	v_add_f16_e32 v3, v62, v3
	v_mul_f16_sdwa v62, v24, s15 dst_sel:DWORD dst_unused:UNUSED_PAD src0_sel:WORD_1 src1_sel:DWORD
	v_fma_f16 v63, v21, s0, v62
	;; [unrolled: 3-line block ×3, first 2 shown]
	v_add_f16_e32 v64, v64, v3
	v_pack_b32_f16 v2, v64, v2
	v_mul_f16_e32 v64, 0xb964, v27
	v_pack_b32_f16 v3, v1, v0
	v_fma_f16 v0, v13, s7, -v64
	v_mul_f16_e32 v65, 0xbbf7, v10
	v_add_f16_sdwa v0, v0, v20 dst_sel:DWORD dst_unused:UNUSED_PAD src0_sel:DWORD src1_sel:WORD_1
	v_fma_f16 v1, v19, s0, -v65
	v_mul_f16_e32 v66, 0xba62, v18
	v_add_f16_e32 v0, v1, v0
	v_fma_f16 v1, v7, s6, -v66
	v_mul_f16_e32 v67, 0xb1e1, v29
	v_add_f16_e32 v0, v1, v0
	;; [unrolled: 3-line block ×5, first 2 shown]
	v_fma_f16 v1, v36, s4, -v70
	v_mul_f16_e32 v71, 0x35c8, v14
	s_mov_b32 s19, 0xb964
	v_add_f16_e32 v0, v1, v0
	v_fma_f16 v1, v38, s3, -v71
	v_mul_f16_sdwa v72, v27, s19 dst_sel:DWORD dst_unused:UNUSED_PAD src0_sel:WORD_1 src1_sel:DWORD
	v_add_f16_e32 v0, v1, v0
	v_fma_f16 v1, v15, s7, v72
	v_mul_f16_sdwa v73, v10, s15 dst_sel:DWORD dst_unused:UNUSED_PAD src0_sel:WORD_1 src1_sel:DWORD
	v_add_f16_e32 v1, v1, v20
	v_fma_f16 v74, v9, s0, v73
	v_add_f16_e32 v1, v74, v1
	v_mul_f16_sdwa v74, v18, s11 dst_sel:DWORD dst_unused:UNUSED_PAD src0_sel:WORD_1 src1_sel:DWORD
	v_fma_f16 v75, v11, s6, v74
	v_add_f16_e32 v1, v75, v1
	v_mul_f16_sdwa v75, v29, s8 dst_sel:DWORD dst_unused:UNUSED_PAD src0_sel:WORD_1 src1_sel:DWORD
	v_fma_f16 v76, v28, s1, v75
	s_movk_i32 s18, 0x3836
	v_add_f16_e32 v1, v76, v1
	v_mul_f16_sdwa v76, v26, s18 dst_sel:DWORD dst_unused:UNUSED_PAD src0_sel:WORD_1 src1_sel:DWORD
	v_fma_f16 v77, v23, s5, v76
	v_add_f16_e32 v1, v77, v1
	v_mul_f16_sdwa v77, v25, s12 dst_sel:DWORD dst_unused:UNUSED_PAD src0_sel:WORD_1 src1_sel:DWORD
	v_fma_f16 v78, v22, s2, v77
	s_movk_i32 s20, 0x3b29
	v_add_f16_e32 v1, v78, v1
	v_mul_f16_sdwa v78, v24, s20 dst_sel:DWORD dst_unused:UNUSED_PAD src0_sel:WORD_1 src1_sel:DWORD
	v_fma_f16 v79, v21, s4, v78
	v_add_f16_e32 v1, v79, v1
	v_mul_f16_sdwa v79, v14, s17 dst_sel:DWORD dst_unused:UNUSED_PAD src0_sel:WORD_1 src1_sel:DWORD
	v_fma_f16 v80, v12, s3, v79
	v_add_f16_e32 v1, v80, v1
	v_mul_f16_e32 v80, 0xb5c8, v27
	v_pack_b32_f16 v1, v1, v0
	v_fma_f16 v0, v13, s3, -v80
	v_mul_f16_e32 v81, 0xb964, v10
	v_add_f16_sdwa v0, v0, v20 dst_sel:DWORD dst_unused:UNUSED_PAD src0_sel:DWORD src1_sel:WORD_1
	v_fma_f16 v82, v19, s7, -v81
	v_add_f16_e32 v0, v82, v0
	v_mul_f16_e32 v82, 0xbb29, v18
	v_fma_f16 v83, v7, s4, -v82
	v_add_f16_e32 v0, v83, v0
	v_mul_f16_e32 v83, 0xbbf7, v29
	;; [unrolled: 3-line block ×6, first 2 shown]
	v_fma_f16 v88, v38, s1, -v87
	v_add_f16_e32 v0, v88, v0
	v_mul_f16_sdwa v88, v27, s14 dst_sel:DWORD dst_unused:UNUSED_PAD src0_sel:WORD_1 src1_sel:DWORD
	v_fma_f16 v89, v15, s3, v88
	v_mul_f16_sdwa v90, v10, s19 dst_sel:DWORD dst_unused:UNUSED_PAD src0_sel:WORD_1 src1_sel:DWORD
	v_add_f16_e32 v89, v89, v20
	v_fma_f16 v91, v9, s7, v90
	v_add_f16_e32 v89, v91, v89
	v_mul_f16_sdwa v91, v18, s9 dst_sel:DWORD dst_unused:UNUSED_PAD src0_sel:WORD_1 src1_sel:DWORD
	v_fma_f16 v92, v11, s4, v91
	v_add_f16_e32 v89, v92, v89
	v_mul_f16_sdwa v92, v29, s15 dst_sel:DWORD dst_unused:UNUSED_PAD src0_sel:WORD_1 src1_sel:DWORD
	v_fma_f16 v93, v28, s0, v92
	s_mov_b32 s21, 0xbbb2
	v_add_f16_e32 v89, v93, v89
	v_mul_f16_sdwa v93, v26, s21 dst_sel:DWORD dst_unused:UNUSED_PAD src0_sel:WORD_1 src1_sel:DWORD
	v_fma_f16 v94, v23, s2, v93
	v_add_f16_e32 v89, v94, v89
	v_mul_f16_sdwa v94, v25, s11 dst_sel:DWORD dst_unused:UNUSED_PAD src0_sel:WORD_1 src1_sel:DWORD
	v_fma_f16 v95, v22, s6, v94
	;; [unrolled: 3-line block ×4, first 2 shown]
	v_add_f16_e32 v89, v97, v89
	v_pack_b32_f16 v0, v89, v0
	v_mul_f16_e32 v89, 0xb836, v27
	v_mul_f16_e32 v98, 0xba62, v27
	v_mul_f16_e32 v100, 0xbbb2, v27
	v_fma_f16 v97, v13, s5, -v89
	v_fma_f16 v89, v13, s5, v89
	v_fma_f16 v99, v13, s6, -v98
	v_fma_f16 v98, v13, s6, v98
	v_fma_f16 v101, v13, s2, -v100
	v_fma_f16 v100, v13, s2, v100
	v_fma_f16 v8, v13, s0, v8
	v_fma_f16 v48, v13, s4, v48
	v_fma_f16 v64, v13, s7, v64
	v_fma_f16 v13, v13, s3, v80
	v_mul_f16_e32 v80, 0x3b29, v10
	v_mul_f16_e32 v103, 0x3bb2, v10
	v_mul_f16_e32 v105, 0x3836, v10
	v_fma_f16 v102, v19, s4, -v80
	v_fma_f16 v80, v19, s4, v80
	v_fma_f16 v104, v19, s2, -v103
	v_fma_f16 v103, v19, s2, v103
	v_fma_f16 v106, v19, s5, -v105
	v_fma_f16 v105, v19, s5, v105
	v_fma_f16 v16, v19, s1, v16
	v_fma_f16 v49, v19, s6, v49
	v_fma_f16 v65, v19, s0, v65
	v_fma_f16 v19, v19, s7, v81
	;; [unrolled: 13-line block ×8, first 2 shown]
	v_pk_mul_f16 v87, v27, s8 op_sel_hi:[1,0]
	v_pk_fma_f16 v137, v15, s1, v87 op_sel:[0,0,1] op_sel_hi:[1,0,0]
	v_pk_mul_f16 v138, v10, s17 op_sel_hi:[1,0]
	v_pk_add_f16 v137, v137, v20
	v_pk_fma_f16 v139, v9, s3, v138 op_sel:[0,0,1] op_sel_hi:[1,0,0]
	v_pk_add_f16 v137, v139, v137
	v_pk_mul_f16 v139, v18, s13 op_sel_hi:[1,0]
	v_add_f16_sdwa v97, v97, v20 dst_sel:DWORD dst_unused:UNUSED_PAD src0_sel:DWORD src1_sel:WORD_1
	v_pk_fma_f16 v140, v11, s5, v139 op_sel:[0,0,1] op_sel_hi:[1,0,0]
	v_add_f16_e32 v97, v102, v97
	v_pk_add_f16 v137, v140, v137
	v_pk_mul_f16 v140, v29, s10 op_sel_hi:[1,0]
	v_add_f16_e32 v97, v107, v97
	v_mul_f16_sdwa v102, v27, s13 dst_sel:DWORD dst_unused:UNUSED_PAD src0_sel:WORD_1 src1_sel:DWORD
	v_pk_fma_f16 v141, v28, s7, v140 op_sel:[0,0,1] op_sel_hi:[1,0,0]
	v_add_f16_e32 v97, v112, v97
	v_fma_f16 v107, v15, s5, v102
	v_mul_f16_sdwa v112, v10, s20 dst_sel:DWORD dst_unused:UNUSED_PAD src0_sel:WORD_1 src1_sel:DWORD
	v_pk_add_f16 v137, v141, v137
	v_pk_mul_f16 v141, v26, s11 op_sel_hi:[1,0]
	v_add_f16_e32 v97, v117, v97
	v_add_f16_e32 v107, v107, v20
	v_fma_f16 v117, v9, s4, v112
	v_pk_fma_f16 v142, v23, s6, v141 op_sel:[0,0,1] op_sel_hi:[1,0,0]
	v_add_f16_e32 v107, v117, v107
	v_mul_f16_sdwa v117, v18, s15 dst_sel:DWORD dst_unused:UNUSED_PAD src0_sel:WORD_1 src1_sel:DWORD
	v_add_f16_sdwa v99, v99, v20 dst_sel:DWORD dst_unused:UNUSED_PAD src0_sel:DWORD src1_sel:WORD_1
	v_pk_add_f16 v137, v142, v137
	v_pk_mul_f16 v142, v25, s20 op_sel_hi:[1,0]
	v_add_f16_e32 v97, v122, v97
	v_fma_f16 v122, v11, s0, v117
	v_add_f16_e32 v99, v104, v99
	v_pk_fma_f16 v143, v22, s4, v142 op_sel:[0,0,1] op_sel_hi:[1,0,0]
	v_add_f16_e32 v107, v122, v107
	v_mul_f16_sdwa v122, v29, s16 dst_sel:DWORD dst_unused:UNUSED_PAD src0_sel:WORD_1 src1_sel:DWORD
	v_add_f16_e32 v99, v109, v99
	v_mul_f16_sdwa v104, v27, s11 dst_sel:DWORD dst_unused:UNUSED_PAD src0_sel:WORD_1 src1_sel:DWORD
	v_pk_add_f16 v137, v143, v137
	v_pk_mul_f16 v143, v24, s21 op_sel_hi:[1,0]
	v_add_f16_e32 v97, v127, v97
	v_fma_f16 v127, v28, s6, v122
	v_add_f16_e32 v99, v114, v99
	v_fma_f16 v109, v15, s6, v104
	v_mul_f16_sdwa v114, v10, s12 dst_sel:DWORD dst_unused:UNUSED_PAD src0_sel:WORD_1 src1_sel:DWORD
	v_pk_fma_f16 v144, v21, s2, v143 op_sel:[0,0,1] op_sel_hi:[1,0,0]
	s_movk_i32 s17, 0x3bf7
	v_add_f16_e32 v107, v127, v107
	v_mul_f16_sdwa v127, v26, s14 dst_sel:DWORD dst_unused:UNUSED_PAD src0_sel:WORD_1 src1_sel:DWORD
	v_add_f16_e32 v99, v119, v99
	v_add_f16_e32 v109, v109, v20
	v_fma_f16 v119, v9, s2, v114
	v_pk_add_f16 v137, v144, v137
	v_pk_mul_f16 v144, v14, s17 op_sel_hi:[1,0]
	v_add_f16_e32 v97, v132, v97
	v_fma_f16 v132, v23, s3, v127
	v_add_f16_e32 v109, v119, v109
	v_mul_f16_sdwa v119, v18, s14 dst_sel:DWORD dst_unused:UNUSED_PAD src0_sel:WORD_1 src1_sel:DWORD
	v_pk_fma_f16 v145, v12, s0, v144 op_sel:[0,0,1] op_sel_hi:[1,0,0]
	v_add_f16_e32 v107, v132, v107
	v_mul_f16_sdwa v132, v25, s8 dst_sel:DWORD dst_unused:UNUSED_PAD src0_sel:WORD_1 src1_sel:DWORD
	v_add_f16_e32 v99, v124, v99
	v_fma_f16 v124, v11, s3, v119
	v_pk_add_f16 v137, v145, v137
	v_fma_f16 v145, v22, s1, v132
	v_add_f16_e32 v109, v124, v109
	v_mul_f16_sdwa v124, v29, s13 dst_sel:DWORD dst_unused:UNUSED_PAD src0_sel:WORD_1 src1_sel:DWORD
	v_add_f16_e32 v107, v145, v107
	v_mul_f16_sdwa v145, v24, s10 dst_sel:DWORD dst_unused:UNUSED_PAD src0_sel:WORD_1 src1_sel:DWORD
	v_add_f16_e32 v99, v129, v99
	v_fma_f16 v129, v28, s5, v124
	v_add_f16_sdwa v101, v101, v20 dst_sel:DWORD dst_unused:UNUSED_PAD src0_sel:DWORD src1_sel:WORD_1
	v_mul_f16_sdwa v27, v27, s21 dst_sel:DWORD dst_unused:UNUSED_PAD src0_sel:WORD_1 src1_sel:DWORD
	v_fma_f16 v146, v21, s7, v145
	v_add_f16_e32 v109, v129, v109
	v_mul_f16_sdwa v129, v26, s17 dst_sel:DWORD dst_unused:UNUSED_PAD src0_sel:WORD_1 src1_sel:DWORD
	v_add_f16_e32 v101, v106, v101
	v_mul_f16_sdwa v10, v10, s18 dst_sel:DWORD dst_unused:UNUSED_PAD src0_sel:WORD_1 src1_sel:DWORD
	v_fma_f16 v106, v15, s2, v27
	v_add_f16_e32 v107, v146, v107
	v_mul_f16_sdwa v146, v14, s21 dst_sel:DWORD dst_unused:UNUSED_PAD src0_sel:WORD_1 src1_sel:DWORD
	v_add_f16_e32 v99, v134, v99
	v_fma_f16 v134, v23, s0, v129
	v_add_f16_e32 v101, v111, v101
	v_add_f16_e32 v106, v106, v20
	v_fma_f16 v111, v9, s5, v10
	v_mul_f16_sdwa v18, v18, s10 dst_sel:DWORD dst_unused:UNUSED_PAD src0_sel:WORD_1 src1_sel:DWORD
	v_fma_f16 v147, v12, s2, v146
	v_add_f16_e32 v109, v134, v109
	v_mul_f16_sdwa v134, v25, s19 dst_sel:DWORD dst_unused:UNUSED_PAD src0_sel:WORD_1 src1_sel:DWORD
	v_add_f16_e32 v106, v111, v106
	v_fma_f16 v111, v11, s7, v18
	v_mul_f16_sdwa v29, v29, s9 dst_sel:DWORD dst_unused:UNUSED_PAD src0_sel:WORD_1 src1_sel:DWORD
	v_add_f16_e32 v107, v147, v107
	v_fma_f16 v147, v22, s7, v134
	v_add_f16_e32 v106, v111, v106
	v_fma_f16 v111, v28, s4, v29
	v_mul_f16_sdwa v26, v26, s8 dst_sel:DWORD dst_unused:UNUSED_PAD src0_sel:WORD_1 src1_sel:DWORD
	v_add_f16_e32 v109, v147, v109
	v_mul_f16_sdwa v147, v24, s8 dst_sel:DWORD dst_unused:UNUSED_PAD src0_sel:WORD_1 src1_sel:DWORD
	v_add_f16_e32 v106, v111, v106
	v_fma_f16 v111, v23, s1, v26
	v_mul_f16_sdwa v25, v25, s17 dst_sel:DWORD dst_unused:UNUSED_PAD src0_sel:WORD_1 src1_sel:DWORD
	v_fma_f16 v148, v21, s1, v147
	v_add_f16_e32 v106, v111, v106
	v_fma_f16 v111, v22, s0, v25
	v_mul_f16_sdwa v24, v24, s14 dst_sel:DWORD dst_unused:UNUSED_PAD src0_sel:WORD_1 src1_sel:DWORD
	v_add_f16_e32 v109, v148, v109
	v_mul_f16_sdwa v148, v14, s20 dst_sel:DWORD dst_unused:UNUSED_PAD src0_sel:WORD_1 src1_sel:DWORD
	v_add_f16_e32 v106, v111, v106
	v_fma_f16 v111, v21, s3, v24
	v_mul_f16_sdwa v14, v14, s11 dst_sel:DWORD dst_unused:UNUSED_PAD src0_sel:WORD_1 src1_sel:DWORD
	v_add_f16_e32 v106, v111, v106
	v_fma_f16 v111, v12, s6, v14
	v_fma_f16 v102, v15, s5, -v102
	v_fma_f16 v104, v15, s6, -v104
	v_fma_f16 v27, v15, s2, -v27
	v_fma_f16 v40, v15, s0, -v40
	v_fma_f16 v56, v15, s4, -v56
	v_fma_f16 v72, v15, s7, -v72
	v_fma_f16 v88, v15, s3, -v88
	v_pk_fma_f16 v15, v15, s1, v87 op_sel:[0,0,1] op_sel_hi:[1,0,0] neg_lo:[0,0,1] neg_hi:[0,0,1]
	v_add_f16_e32 v106, v111, v106
	v_fma_f16 v87, v9, s4, -v112
	v_fma_f16 v111, v9, s2, -v114
	;; [unrolled: 1-line block ×7, first 2 shown]
	v_pk_fma_f16 v9, v9, s3, v138 op_sel:[0,0,1] op_sel_hi:[1,0,0] neg_lo:[0,0,1] neg_hi:[0,0,1]
	v_pk_add_f16 v15, v15, v20
	v_pk_add_f16 v9, v9, v15
	v_fma_f16 v15, v11, s0, -v117
	v_fma_f16 v112, v11, s3, -v119
	;; [unrolled: 1-line block ×7, first 2 shown]
	v_pk_fma_f16 v11, v11, s5, v139 op_sel:[0,0,1] op_sel_hi:[1,0,0] neg_lo:[0,0,1] neg_hi:[0,0,1]
	v_pk_add_f16 v9, v11, v9
	v_fma_f16 v11, v28, s6, -v122
	v_fma_f16 v114, v28, s5, -v124
	;; [unrolled: 1-line block ×7, first 2 shown]
	v_pk_fma_f16 v28, v28, s7, v140 op_sel:[0,0,1] op_sel_hi:[1,0,0] neg_lo:[0,0,1] neg_hi:[0,0,1]
	v_add_f16_e32 v101, v116, v101
	v_pk_add_f16 v9, v28, v9
	v_fma_f16 v28, v23, s3, -v127
	v_fma_f16 v116, v23, s0, -v129
	v_fma_f16 v26, v23, s1, -v26
	v_fma_f16 v44, v23, s4, -v44
	v_fma_f16 v60, v23, s7, -v60
	v_fma_f16 v76, v23, s5, -v76
	v_fma_f16 v93, v23, s2, -v93
	v_pk_fma_f16 v23, v23, s6, v141 op_sel:[0,0,1] op_sel_hi:[1,0,0] neg_lo:[0,0,1] neg_hi:[0,0,1]
	v_pk_add_f16 v9, v23, v9
	v_fma_f16 v23, v22, s1, -v132
	v_fma_f16 v117, v22, s7, -v134
	v_fma_f16 v25, v22, s0, -v25
	v_fma_f16 v45, v22, s5, -v45
	v_fma_f16 v61, v22, s3, -v61
	v_fma_f16 v77, v22, s2, -v77
	v_fma_f16 v94, v22, s6, -v94
	v_pk_fma_f16 v22, v22, s4, v142 op_sel:[0,0,1] op_sel_hi:[1,0,0] neg_lo:[0,0,1] neg_hi:[0,0,1]
	;; [unrolled: 9-line block ×3, first 2 shown]
	v_fma_f16 v149, v12, s4, v148
	v_add_f16_e32 v101, v121, v101
	v_pk_add_f16 v9, v21, v9
	v_fma_f16 v21, v12, s2, -v146
	v_fma_f16 v121, v12, s4, -v148
	;; [unrolled: 1-line block ×7, first 2 shown]
	v_pk_fma_f16 v12, v12, s0, v144 op_sel:[0,0,1] op_sel_hi:[1,0,0] neg_lo:[0,0,1] neg_hi:[0,0,1]
	v_pk_add_f16 v9, v12, v9
	v_add_f16_sdwa v12, v89, v20 dst_sel:DWORD dst_unused:UNUSED_PAD src0_sel:DWORD src1_sel:WORD_1
	v_add_f16_e32 v12, v80, v12
	v_add_f16_e32 v80, v102, v20
	;; [unrolled: 1-line block ×14, first 2 shown]
	v_add_f16_sdwa v8, v8, v20 dst_sel:DWORD dst_unused:UNUSED_PAD src0_sel:DWORD src1_sel:WORD_1
	v_add_f16_sdwa v13, v13, v20 dst_sel:DWORD dst_unused:UNUSED_PAD src0_sel:DWORD src1_sel:WORD_1
	v_add_f16_e32 v11, v21, v11
	v_add_f16_sdwa v15, v98, v20 dst_sel:DWORD dst_unused:UNUSED_PAD src0_sel:DWORD src1_sel:WORD_1
	v_add_f16_e32 v21, v104, v20
	v_add_f16_e32 v10, v24, v10
	v_add_f16_e32 v8, v16, v8
	v_add_f16_e32 v13, v19, v13
	v_add_f16_e32 v15, v103, v15
	v_add_f16_e32 v21, v111, v21
	v_add_f16_sdwa v22, v100, v20 dst_sel:DWORD dst_unused:UNUSED_PAD src0_sel:DWORD src1_sel:WORD_1
	v_add_f16_e32 v10, v14, v10
	v_add_f16_e32 v8, v17, v8
	;; [unrolled: 1-line block ×3, first 2 shown]
	v_add_f16_sdwa v16, v48, v20 dst_sel:DWORD dst_unused:UNUSED_PAD src0_sel:DWORD src1_sel:WORD_1
	v_add_f16_e32 v17, v56, v20
	v_add_f16_sdwa v18, v64, v20 dst_sel:DWORD dst_unused:UNUSED_PAD src0_sel:DWORD src1_sel:WORD_1
	v_add_f16_e32 v23, v72, v20
	v_add_f16_e32 v7, v7, v13
	;; [unrolled: 1-line block ×73, first 2 shown]
	global_store_dword v[4:5], v6, off
	global_store_dwordx4 v[4:5], v[0:3], off offset:4
	v_add_f16_e32 v22, v135, v22
	v_pack_b32_f16 v1, v109, v99
	v_pack_b32_f16 v0, v106, v101
	;; [unrolled: 1-line block ×3, first 2 shown]
	v_add_f16_e32 v8, v39, v8
	v_add_f16_e32 v14, v47, v14
	;; [unrolled: 1-line block ×8, first 2 shown]
	global_store_short v[4:5], v137, off offset:32
	global_store_dwordx3 v[4:5], v[0:2], off offset:20
	v_pack_b32_f16 v3, v15, v10
	v_alignbit_b32 v0, v9, v9, 16
	v_pack_b32_f16 v2, v12, v21
	v_alignbit_b32 v1, v11, v137, 16
	v_add_f16_e32 v7, v36, v7
	global_store_dwordx4 v[4:5], v[0:3], off offset:34
	v_add_f16_e32 v7, v38, v7
	v_pack_b32_f16 v3, v18, v13
	v_pack_b32_f16 v2, v16, v23
	;; [unrolled: 1-line block ×4, first 2 shown]
	global_store_dwordx4 v[4:5], v[0:3], off offset:50
	global_store_short v[4:5], v7, off offset:66
	s_endpgm
	.section	.rodata,"a",@progbits
	.p2align	6, 0x0
	.amdhsa_kernel fft_rtc_back_len17_factors_17_wgs_120_tpt_1_half_op_CI_CI_unitstride_sbrr_dirReg
		.amdhsa_group_segment_fixed_size 0
		.amdhsa_private_segment_fixed_size 0
		.amdhsa_kernarg_size 104
		.amdhsa_user_sgpr_count 6
		.amdhsa_user_sgpr_private_segment_buffer 1
		.amdhsa_user_sgpr_dispatch_ptr 0
		.amdhsa_user_sgpr_queue_ptr 0
		.amdhsa_user_sgpr_kernarg_segment_ptr 1
		.amdhsa_user_sgpr_dispatch_id 0
		.amdhsa_user_sgpr_flat_scratch_init 0
		.amdhsa_user_sgpr_private_segment_size 0
		.amdhsa_uses_dynamic_stack 0
		.amdhsa_system_sgpr_private_segment_wavefront_offset 0
		.amdhsa_system_sgpr_workgroup_id_x 1
		.amdhsa_system_sgpr_workgroup_id_y 0
		.amdhsa_system_sgpr_workgroup_id_z 0
		.amdhsa_system_sgpr_workgroup_info 0
		.amdhsa_system_vgpr_workitem_id 0
		.amdhsa_next_free_vgpr 150
		.amdhsa_next_free_sgpr 26
		.amdhsa_reserve_vcc 1
		.amdhsa_reserve_flat_scratch 0
		.amdhsa_float_round_mode_32 0
		.amdhsa_float_round_mode_16_64 0
		.amdhsa_float_denorm_mode_32 3
		.amdhsa_float_denorm_mode_16_64 3
		.amdhsa_dx10_clamp 1
		.amdhsa_ieee_mode 1
		.amdhsa_fp16_overflow 0
		.amdhsa_exception_fp_ieee_invalid_op 0
		.amdhsa_exception_fp_denorm_src 0
		.amdhsa_exception_fp_ieee_div_zero 0
		.amdhsa_exception_fp_ieee_overflow 0
		.amdhsa_exception_fp_ieee_underflow 0
		.amdhsa_exception_fp_ieee_inexact 0
		.amdhsa_exception_int_div_zero 0
	.end_amdhsa_kernel
	.text
.Lfunc_end0:
	.size	fft_rtc_back_len17_factors_17_wgs_120_tpt_1_half_op_CI_CI_unitstride_sbrr_dirReg, .Lfunc_end0-fft_rtc_back_len17_factors_17_wgs_120_tpt_1_half_op_CI_CI_unitstride_sbrr_dirReg
                                        ; -- End function
	.section	.AMDGPU.csdata,"",@progbits
; Kernel info:
; codeLenInByte = 5948
; NumSgprs: 30
; NumVgprs: 150
; ScratchSize: 0
; MemoryBound: 1
; FloatMode: 240
; IeeeMode: 1
; LDSByteSize: 0 bytes/workgroup (compile time only)
; SGPRBlocks: 3
; VGPRBlocks: 37
; NumSGPRsForWavesPerEU: 30
; NumVGPRsForWavesPerEU: 150
; Occupancy: 1
; WaveLimiterHint : 1
; COMPUTE_PGM_RSRC2:SCRATCH_EN: 0
; COMPUTE_PGM_RSRC2:USER_SGPR: 6
; COMPUTE_PGM_RSRC2:TRAP_HANDLER: 0
; COMPUTE_PGM_RSRC2:TGID_X_EN: 1
; COMPUTE_PGM_RSRC2:TGID_Y_EN: 0
; COMPUTE_PGM_RSRC2:TGID_Z_EN: 0
; COMPUTE_PGM_RSRC2:TIDIG_COMP_CNT: 0
	.type	__hip_cuid_c8bd112cf6ba5596,@object ; @__hip_cuid_c8bd112cf6ba5596
	.section	.bss,"aw",@nobits
	.globl	__hip_cuid_c8bd112cf6ba5596
__hip_cuid_c8bd112cf6ba5596:
	.byte	0                               ; 0x0
	.size	__hip_cuid_c8bd112cf6ba5596, 1

	.ident	"AMD clang version 19.0.0git (https://github.com/RadeonOpenCompute/llvm-project roc-6.4.0 25133 c7fe45cf4b819c5991fe208aaa96edf142730f1d)"
	.section	".note.GNU-stack","",@progbits
	.addrsig
	.addrsig_sym __hip_cuid_c8bd112cf6ba5596
	.amdgpu_metadata
---
amdhsa.kernels:
  - .args:
      - .actual_access:  read_only
        .address_space:  global
        .offset:         0
        .size:           8
        .value_kind:     global_buffer
      - .offset:         8
        .size:           8
        .value_kind:     by_value
      - .actual_access:  read_only
        .address_space:  global
        .offset:         16
        .size:           8
        .value_kind:     global_buffer
      - .actual_access:  read_only
        .address_space:  global
        .offset:         24
        .size:           8
        .value_kind:     global_buffer
      - .actual_access:  read_only
        .address_space:  global
        .offset:         32
        .size:           8
        .value_kind:     global_buffer
      - .offset:         40
        .size:           8
        .value_kind:     by_value
      - .actual_access:  read_only
        .address_space:  global
        .offset:         48
        .size:           8
        .value_kind:     global_buffer
      - .actual_access:  read_only
        .address_space:  global
        .offset:         56
        .size:           8
        .value_kind:     global_buffer
      - .offset:         64
        .size:           4
        .value_kind:     by_value
      - .actual_access:  read_only
        .address_space:  global
        .offset:         72
        .size:           8
        .value_kind:     global_buffer
      - .actual_access:  read_only
        .address_space:  global
        .offset:         80
        .size:           8
        .value_kind:     global_buffer
      - .actual_access:  read_only
        .address_space:  global
        .offset:         88
        .size:           8
        .value_kind:     global_buffer
      - .actual_access:  write_only
        .address_space:  global
        .offset:         96
        .size:           8
        .value_kind:     global_buffer
    .group_segment_fixed_size: 0
    .kernarg_segment_align: 8
    .kernarg_segment_size: 104
    .language:       OpenCL C
    .language_version:
      - 2
      - 0
    .max_flat_workgroup_size: 120
    .name:           fft_rtc_back_len17_factors_17_wgs_120_tpt_1_half_op_CI_CI_unitstride_sbrr_dirReg
    .private_segment_fixed_size: 0
    .sgpr_count:     30
    .sgpr_spill_count: 0
    .symbol:         fft_rtc_back_len17_factors_17_wgs_120_tpt_1_half_op_CI_CI_unitstride_sbrr_dirReg.kd
    .uniform_work_group_size: 1
    .uses_dynamic_stack: false
    .vgpr_count:     150
    .vgpr_spill_count: 0
    .wavefront_size: 64
amdhsa.target:   amdgcn-amd-amdhsa--gfx906
amdhsa.version:
  - 1
  - 2
...

	.end_amdgpu_metadata
